;; amdgpu-corpus repo=ROCm/rocFFT kind=compiled arch=gfx1100 opt=O3
	.text
	.amdgcn_target "amdgcn-amd-amdhsa--gfx1100"
	.amdhsa_code_object_version 6
	.protected	fft_rtc_fwd_len88_factors_11_8_wgs_121_tpt_11_halfLds_half_ip_CI_unitstride_sbrr_dirReg ; -- Begin function fft_rtc_fwd_len88_factors_11_8_wgs_121_tpt_11_halfLds_half_ip_CI_unitstride_sbrr_dirReg
	.globl	fft_rtc_fwd_len88_factors_11_8_wgs_121_tpt_11_halfLds_half_ip_CI_unitstride_sbrr_dirReg
	.p2align	8
	.type	fft_rtc_fwd_len88_factors_11_8_wgs_121_tpt_11_halfLds_half_ip_CI_unitstride_sbrr_dirReg,@function
fft_rtc_fwd_len88_factors_11_8_wgs_121_tpt_11_halfLds_half_ip_CI_unitstride_sbrr_dirReg: ; @fft_rtc_fwd_len88_factors_11_8_wgs_121_tpt_11_halfLds_half_ip_CI_unitstride_sbrr_dirReg
; %bb.0:
	s_load_b128 s[4:7], s[0:1], 0x0
	v_mul_u32_u24_e32 v1, 0x1746, v0
	s_clause 0x1
	s_load_b64 s[8:9], s[0:1], 0x50
	s_load_b64 s[10:11], s[0:1], 0x18
	s_delay_alu instid0(VALU_DEP_1) | instskip(SKIP_1) | instid1(VALU_DEP_2)
	v_lshrrev_b32_e32 v2, 16, v1
	v_mov_b32_e32 v1, 0
	v_mad_u64_u32 v[5:6], null, s15, 11, v[2:3]
	v_mov_b32_e32 v3, 0
	v_mov_b32_e32 v4, 0
	s_delay_alu instid0(VALU_DEP_4) | instskip(NEXT) | instid1(VALU_DEP_1)
	v_mov_b32_e32 v6, v1
	v_dual_mov_b32 v9, v6 :: v_dual_mov_b32 v8, v5
	s_waitcnt lgkmcnt(0)
	v_cmp_lt_u64_e64 s2, s[6:7], 2
	s_delay_alu instid0(VALU_DEP_1)
	s_and_b32 vcc_lo, exec_lo, s2
	s_cbranch_vccnz .LBB0_8
; %bb.1:
	s_load_b64 s[2:3], s[0:1], 0x10
	v_mov_b32_e32 v7, v6
	v_dual_mov_b32 v3, 0 :: v_dual_mov_b32 v6, v5
	s_add_u32 s12, s10, 8
	v_mov_b32_e32 v4, 0
	s_addc_u32 s13, s11, 0
	s_mov_b64 s[16:17], 1
	s_waitcnt lgkmcnt(0)
	s_add_u32 s14, s2, 8
	s_addc_u32 s15, s3, 0
.LBB0_2:                                ; =>This Inner Loop Header: Depth=1
	s_load_b64 s[18:19], s[14:15], 0x0
                                        ; implicit-def: $vgpr8_vgpr9
	s_mov_b32 s2, exec_lo
	s_waitcnt lgkmcnt(0)
	v_or_b32_e32 v2, s19, v7
	s_delay_alu instid0(VALU_DEP_1)
	v_cmpx_ne_u64_e32 0, v[1:2]
	s_xor_b32 s3, exec_lo, s2
	s_cbranch_execz .LBB0_4
; %bb.3:                                ;   in Loop: Header=BB0_2 Depth=1
	v_cvt_f32_u32_e32 v2, s18
	v_cvt_f32_u32_e32 v8, s19
	s_sub_u32 s2, 0, s18
	s_subb_u32 s20, 0, s19
	s_delay_alu instid0(VALU_DEP_1) | instskip(NEXT) | instid1(VALU_DEP_1)
	v_fmac_f32_e32 v2, 0x4f800000, v8
	v_rcp_f32_e32 v2, v2
	s_waitcnt_depctr 0xfff
	v_mul_f32_e32 v2, 0x5f7ffffc, v2
	s_delay_alu instid0(VALU_DEP_1) | instskip(NEXT) | instid1(VALU_DEP_1)
	v_mul_f32_e32 v8, 0x2f800000, v2
	v_trunc_f32_e32 v8, v8
	s_delay_alu instid0(VALU_DEP_1) | instskip(SKIP_1) | instid1(VALU_DEP_2)
	v_fmac_f32_e32 v2, 0xcf800000, v8
	v_cvt_u32_f32_e32 v8, v8
	v_cvt_u32_f32_e32 v2, v2
	s_delay_alu instid0(VALU_DEP_2) | instskip(NEXT) | instid1(VALU_DEP_2)
	v_mul_lo_u32 v9, s2, v8
	v_mul_hi_u32 v10, s2, v2
	v_mul_lo_u32 v11, s20, v2
	s_delay_alu instid0(VALU_DEP_2) | instskip(SKIP_1) | instid1(VALU_DEP_2)
	v_add_nc_u32_e32 v9, v10, v9
	v_mul_lo_u32 v10, s2, v2
	v_add_nc_u32_e32 v9, v9, v11
	s_delay_alu instid0(VALU_DEP_2) | instskip(NEXT) | instid1(VALU_DEP_2)
	v_mul_hi_u32 v11, v2, v10
	v_mul_lo_u32 v12, v2, v9
	v_mul_hi_u32 v13, v2, v9
	v_mul_hi_u32 v14, v8, v10
	v_mul_lo_u32 v10, v8, v10
	v_mul_hi_u32 v15, v8, v9
	v_mul_lo_u32 v9, v8, v9
	v_add_co_u32 v11, vcc_lo, v11, v12
	v_add_co_ci_u32_e32 v12, vcc_lo, 0, v13, vcc_lo
	s_delay_alu instid0(VALU_DEP_2) | instskip(NEXT) | instid1(VALU_DEP_2)
	v_add_co_u32 v10, vcc_lo, v11, v10
	v_add_co_ci_u32_e32 v10, vcc_lo, v12, v14, vcc_lo
	v_add_co_ci_u32_e32 v11, vcc_lo, 0, v15, vcc_lo
	s_delay_alu instid0(VALU_DEP_2) | instskip(NEXT) | instid1(VALU_DEP_2)
	v_add_co_u32 v9, vcc_lo, v10, v9
	v_add_co_ci_u32_e32 v10, vcc_lo, 0, v11, vcc_lo
	s_delay_alu instid0(VALU_DEP_2) | instskip(NEXT) | instid1(VALU_DEP_2)
	v_add_co_u32 v2, vcc_lo, v2, v9
	v_add_co_ci_u32_e32 v8, vcc_lo, v8, v10, vcc_lo
	s_delay_alu instid0(VALU_DEP_2) | instskip(SKIP_1) | instid1(VALU_DEP_3)
	v_mul_hi_u32 v9, s2, v2
	v_mul_lo_u32 v11, s20, v2
	v_mul_lo_u32 v10, s2, v8
	s_delay_alu instid0(VALU_DEP_1) | instskip(SKIP_1) | instid1(VALU_DEP_2)
	v_add_nc_u32_e32 v9, v9, v10
	v_mul_lo_u32 v10, s2, v2
	v_add_nc_u32_e32 v9, v9, v11
	s_delay_alu instid0(VALU_DEP_2) | instskip(NEXT) | instid1(VALU_DEP_2)
	v_mul_hi_u32 v11, v2, v10
	v_mul_lo_u32 v12, v2, v9
	v_mul_hi_u32 v13, v2, v9
	v_mul_hi_u32 v14, v8, v10
	v_mul_lo_u32 v10, v8, v10
	v_mul_hi_u32 v15, v8, v9
	v_mul_lo_u32 v9, v8, v9
	v_add_co_u32 v11, vcc_lo, v11, v12
	v_add_co_ci_u32_e32 v12, vcc_lo, 0, v13, vcc_lo
	s_delay_alu instid0(VALU_DEP_2) | instskip(NEXT) | instid1(VALU_DEP_2)
	v_add_co_u32 v10, vcc_lo, v11, v10
	v_add_co_ci_u32_e32 v10, vcc_lo, v12, v14, vcc_lo
	v_add_co_ci_u32_e32 v11, vcc_lo, 0, v15, vcc_lo
	s_delay_alu instid0(VALU_DEP_2) | instskip(NEXT) | instid1(VALU_DEP_2)
	v_add_co_u32 v9, vcc_lo, v10, v9
	v_add_co_ci_u32_e32 v10, vcc_lo, 0, v11, vcc_lo
	s_delay_alu instid0(VALU_DEP_2) | instskip(NEXT) | instid1(VALU_DEP_2)
	v_add_co_u32 v2, vcc_lo, v2, v9
	v_add_co_ci_u32_e32 v14, vcc_lo, v8, v10, vcc_lo
	s_delay_alu instid0(VALU_DEP_2) | instskip(SKIP_1) | instid1(VALU_DEP_3)
	v_mul_hi_u32 v15, v6, v2
	v_mad_u64_u32 v[10:11], null, v7, v2, 0
	v_mad_u64_u32 v[8:9], null, v6, v14, 0
	;; [unrolled: 1-line block ×3, first 2 shown]
	s_delay_alu instid0(VALU_DEP_2) | instskip(NEXT) | instid1(VALU_DEP_3)
	v_add_co_u32 v2, vcc_lo, v15, v8
	v_add_co_ci_u32_e32 v8, vcc_lo, 0, v9, vcc_lo
	s_delay_alu instid0(VALU_DEP_2) | instskip(NEXT) | instid1(VALU_DEP_2)
	v_add_co_u32 v2, vcc_lo, v2, v10
	v_add_co_ci_u32_e32 v2, vcc_lo, v8, v11, vcc_lo
	v_add_co_ci_u32_e32 v8, vcc_lo, 0, v13, vcc_lo
	s_delay_alu instid0(VALU_DEP_2) | instskip(NEXT) | instid1(VALU_DEP_2)
	v_add_co_u32 v2, vcc_lo, v2, v12
	v_add_co_ci_u32_e32 v10, vcc_lo, 0, v8, vcc_lo
	s_delay_alu instid0(VALU_DEP_2) | instskip(SKIP_1) | instid1(VALU_DEP_3)
	v_mul_lo_u32 v11, s19, v2
	v_mad_u64_u32 v[8:9], null, s18, v2, 0
	v_mul_lo_u32 v12, s18, v10
	s_delay_alu instid0(VALU_DEP_2) | instskip(NEXT) | instid1(VALU_DEP_2)
	v_sub_co_u32 v8, vcc_lo, v6, v8
	v_add3_u32 v9, v9, v12, v11
	s_delay_alu instid0(VALU_DEP_1) | instskip(NEXT) | instid1(VALU_DEP_1)
	v_sub_nc_u32_e32 v11, v7, v9
	v_subrev_co_ci_u32_e64 v11, s2, s19, v11, vcc_lo
	v_add_co_u32 v12, s2, v2, 2
	s_delay_alu instid0(VALU_DEP_1) | instskip(SKIP_3) | instid1(VALU_DEP_3)
	v_add_co_ci_u32_e64 v13, s2, 0, v10, s2
	v_sub_co_u32 v14, s2, v8, s18
	v_sub_co_ci_u32_e32 v9, vcc_lo, v7, v9, vcc_lo
	v_subrev_co_ci_u32_e64 v11, s2, 0, v11, s2
	v_cmp_le_u32_e32 vcc_lo, s18, v14
	s_delay_alu instid0(VALU_DEP_3) | instskip(SKIP_1) | instid1(VALU_DEP_4)
	v_cmp_eq_u32_e64 s2, s19, v9
	v_cndmask_b32_e64 v14, 0, -1, vcc_lo
	v_cmp_le_u32_e32 vcc_lo, s19, v11
	v_cndmask_b32_e64 v15, 0, -1, vcc_lo
	v_cmp_le_u32_e32 vcc_lo, s18, v8
	;; [unrolled: 2-line block ×3, first 2 shown]
	v_cndmask_b32_e64 v16, 0, -1, vcc_lo
	v_cmp_eq_u32_e32 vcc_lo, s19, v11
	s_delay_alu instid0(VALU_DEP_2) | instskip(SKIP_3) | instid1(VALU_DEP_3)
	v_cndmask_b32_e64 v8, v16, v8, s2
	v_cndmask_b32_e32 v11, v15, v14, vcc_lo
	v_add_co_u32 v14, vcc_lo, v2, 1
	v_add_co_ci_u32_e32 v15, vcc_lo, 0, v10, vcc_lo
	v_cmp_ne_u32_e32 vcc_lo, 0, v11
	s_delay_alu instid0(VALU_DEP_3) | instskip(NEXT) | instid1(VALU_DEP_3)
	v_cndmask_b32_e32 v11, v14, v12, vcc_lo
	v_cndmask_b32_e32 v9, v15, v13, vcc_lo
	v_cmp_ne_u32_e32 vcc_lo, 0, v8
	s_delay_alu instid0(VALU_DEP_3) | instskip(NEXT) | instid1(VALU_DEP_3)
	v_cndmask_b32_e32 v8, v2, v11, vcc_lo
	v_cndmask_b32_e32 v9, v10, v9, vcc_lo
.LBB0_4:                                ;   in Loop: Header=BB0_2 Depth=1
	s_and_not1_saveexec_b32 s2, s3
	s_cbranch_execz .LBB0_6
; %bb.5:                                ;   in Loop: Header=BB0_2 Depth=1
	v_cvt_f32_u32_e32 v2, s18
	s_sub_i32 s3, 0, s18
	s_delay_alu instid0(VALU_DEP_1) | instskip(SKIP_2) | instid1(VALU_DEP_1)
	v_rcp_iflag_f32_e32 v2, v2
	s_waitcnt_depctr 0xfff
	v_mul_f32_e32 v2, 0x4f7ffffe, v2
	v_cvt_u32_f32_e32 v2, v2
	s_delay_alu instid0(VALU_DEP_1) | instskip(NEXT) | instid1(VALU_DEP_1)
	v_mul_lo_u32 v8, s3, v2
	v_mul_hi_u32 v8, v2, v8
	s_delay_alu instid0(VALU_DEP_1) | instskip(NEXT) | instid1(VALU_DEP_1)
	v_add_nc_u32_e32 v2, v2, v8
	v_mul_hi_u32 v2, v6, v2
	s_delay_alu instid0(VALU_DEP_1) | instskip(SKIP_1) | instid1(VALU_DEP_2)
	v_mul_lo_u32 v8, v2, s18
	v_add_nc_u32_e32 v9, 1, v2
	v_sub_nc_u32_e32 v8, v6, v8
	s_delay_alu instid0(VALU_DEP_1) | instskip(SKIP_1) | instid1(VALU_DEP_2)
	v_subrev_nc_u32_e32 v10, s18, v8
	v_cmp_le_u32_e32 vcc_lo, s18, v8
	v_cndmask_b32_e32 v8, v8, v10, vcc_lo
	v_cndmask_b32_e32 v2, v2, v9, vcc_lo
	s_delay_alu instid0(VALU_DEP_2) | instskip(NEXT) | instid1(VALU_DEP_2)
	v_cmp_le_u32_e32 vcc_lo, s18, v8
	v_add_nc_u32_e32 v9, 1, v2
	s_delay_alu instid0(VALU_DEP_1)
	v_dual_cndmask_b32 v8, v2, v9 :: v_dual_mov_b32 v9, v1
.LBB0_6:                                ;   in Loop: Header=BB0_2 Depth=1
	s_or_b32 exec_lo, exec_lo, s2
	s_load_b64 s[2:3], s[12:13], 0x0
	s_delay_alu instid0(VALU_DEP_1) | instskip(NEXT) | instid1(VALU_DEP_2)
	v_mul_lo_u32 v2, v9, s18
	v_mul_lo_u32 v12, v8, s19
	v_mad_u64_u32 v[10:11], null, v8, s18, 0
	s_add_u32 s16, s16, 1
	s_addc_u32 s17, s17, 0
	s_add_u32 s12, s12, 8
	s_addc_u32 s13, s13, 0
	;; [unrolled: 2-line block ×3, first 2 shown]
	s_delay_alu instid0(VALU_DEP_1) | instskip(SKIP_1) | instid1(VALU_DEP_2)
	v_add3_u32 v2, v11, v12, v2
	v_sub_co_u32 v10, vcc_lo, v6, v10
	v_sub_co_ci_u32_e32 v2, vcc_lo, v7, v2, vcc_lo
	s_waitcnt lgkmcnt(0)
	s_delay_alu instid0(VALU_DEP_2) | instskip(NEXT) | instid1(VALU_DEP_2)
	v_mul_lo_u32 v11, s3, v10
	v_mul_lo_u32 v2, s2, v2
	v_mad_u64_u32 v[6:7], null, s2, v10, v[3:4]
	v_cmp_ge_u64_e64 s2, s[16:17], s[6:7]
	s_delay_alu instid0(VALU_DEP_1) | instskip(NEXT) | instid1(VALU_DEP_2)
	s_and_b32 vcc_lo, exec_lo, s2
	v_add3_u32 v4, v11, v7, v2
	s_delay_alu instid0(VALU_DEP_3)
	v_mov_b32_e32 v3, v6
	s_cbranch_vccnz .LBB0_8
; %bb.7:                                ;   in Loop: Header=BB0_2 Depth=1
	v_dual_mov_b32 v6, v8 :: v_dual_mov_b32 v7, v9
	s_branch .LBB0_2
.LBB0_8:
	s_lshl_b64 s[2:3], s[6:7], 3
	v_mul_hi_u32 v6, 0x1745d175, v0
	s_add_u32 s2, s10, s2
	s_addc_u32 s3, s11, s3
                                        ; implicit-def: $vgpr26
                                        ; implicit-def: $vgpr16
                                        ; implicit-def: $vgpr24
                                        ; implicit-def: $vgpr14
                                        ; implicit-def: $vgpr21
                                        ; implicit-def: $vgpr13
                                        ; implicit-def: $vgpr19
                                        ; implicit-def: $vgpr12
                                        ; implicit-def: $vgpr18
                                        ; implicit-def: $vgpr15
                                        ; implicit-def: $vgpr11
                                        ; implicit-def: $vgpr17
                                        ; implicit-def: $vgpr25
                                        ; implicit-def: $vgpr22
                                        ; implicit-def: $vgpr20
	s_load_b64 s[2:3], s[2:3], 0x0
	s_load_b64 s[0:1], s[0:1], 0x20
	v_mov_b32_e32 v23, 0
	s_waitcnt lgkmcnt(0)
	v_mul_lo_u32 v7, s2, v9
	v_mul_lo_u32 v10, s3, v8
	v_mad_u64_u32 v[1:2], null, s2, v8, v[3:4]
	v_mul_u32_u24_e32 v3, 11, v6
	v_cmp_gt_u64_e32 vcc_lo, s[0:1], v[8:9]
	v_mov_b32_e32 v6, 0
	v_mov_b32_e32 v4, 0
                                        ; implicit-def: $vgpr8
                                        ; implicit-def: $vgpr9
	s_delay_alu instid0(VALU_DEP_4)
	v_sub_nc_u32_e32 v3, v0, v3
	v_add3_u32 v2, v10, v2, v7
                                        ; implicit-def: $vgpr0
                                        ; implicit-def: $vgpr7
                                        ; implicit-def: $vgpr10
	s_and_saveexec_b32 s1, vcc_lo
	s_cbranch_execz .LBB0_12
; %bb.9:
	s_delay_alu instid0(VALU_DEP_2) | instskip(SKIP_1) | instid1(VALU_DEP_2)
	v_cmp_gt_u32_e64 s0, 8, v3
	v_dual_mov_b32 v23, 0 :: v_dual_mov_b32 v6, 0
                                        ; implicit-def: $vgpr20
                                        ; implicit-def: $vgpr10
                                        ; implicit-def: $vgpr22
                                        ; implicit-def: $vgpr9
                                        ; implicit-def: $vgpr25
                                        ; implicit-def: $vgpr8
                                        ; implicit-def: $vgpr17
                                        ; implicit-def: $vgpr11
                                        ; implicit-def: $vgpr7
                                        ; implicit-def: $vgpr15
                                        ; implicit-def: $vgpr0
                                        ; implicit-def: $vgpr18
                                        ; implicit-def: $vgpr12
                                        ; implicit-def: $vgpr19
                                        ; implicit-def: $vgpr13
                                        ; implicit-def: $vgpr21
                                        ; implicit-def: $vgpr14
                                        ; implicit-def: $vgpr24
                                        ; implicit-def: $vgpr16
                                        ; implicit-def: $vgpr26
	s_and_saveexec_b32 s2, s0
	s_cbranch_execz .LBB0_11
; %bb.10:
	v_mov_b32_e32 v4, 0
	v_lshlrev_b64 v[6:7], 2, v[1:2]
	s_delay_alu instid0(VALU_DEP_2) | instskip(NEXT) | instid1(VALU_DEP_2)
	v_lshlrev_b64 v[8:9], 2, v[3:4]
	v_add_co_u32 v0, s0, s8, v6
	s_delay_alu instid0(VALU_DEP_1) | instskip(NEXT) | instid1(VALU_DEP_2)
	v_add_co_ci_u32_e64 v4, s0, s9, v7, s0
	v_add_co_u32 v8, s0, v0, v8
	s_delay_alu instid0(VALU_DEP_1)
	v_add_co_ci_u32_e64 v9, s0, v4, v9, s0
	s_clause 0xa
	global_load_b32 v23, v[8:9], off
	global_load_b32 v16, v[8:9], off offset:32
	global_load_b32 v14, v[8:9], off offset:64
	;; [unrolled: 1-line block ×10, first 2 shown]
	s_waitcnt vmcnt(10)
	v_lshrrev_b32_e32 v6, 16, v23
	s_waitcnt vmcnt(9)
	v_lshrrev_b32_e32 v26, 16, v16
	;; [unrolled: 2-line block ×11, first 2 shown]
.LBB0_11:
	s_or_b32 exec_lo, exec_lo, s2
	v_mov_b32_e32 v4, v3
.LBB0_12:
	s_or_b32 exec_lo, exec_lo, s1
	v_mul_hi_u32 v27, 0xba2e8ba3, v5
	v_cmp_gt_u32_e64 s0, 8, v3
	s_delay_alu instid0(VALU_DEP_2) | instskip(NEXT) | instid1(VALU_DEP_1)
	v_lshrrev_b32_e32 v27, 3, v27
	v_mul_lo_u32 v27, v27, 11
	s_delay_alu instid0(VALU_DEP_1) | instskip(NEXT) | instid1(VALU_DEP_1)
	v_sub_nc_u32_e32 v5, v5, v27
	v_mul_u32_u24_e32 v5, 0x58, v5
	s_delay_alu instid0(VALU_DEP_1)
	v_lshlrev_b32_e32 v5, 1, v5
	s_and_saveexec_b32 s1, s0
	s_cbranch_execz .LBB0_14
; %bb.13:
	v_sub_f16_e32 v27, v26, v8
	v_add_f16_e32 v29, v23, v16
	v_add_f16_e32 v28, v16, v25
	v_sub_f16_e32 v31, v24, v9
	v_add_f16_e32 v30, v14, v22
	v_mul_f16_e32 v32, 0xb482, v27
	v_add_f16_e32 v29, v29, v14
	v_sub_f16_e32 v34, v21, v10
	v_mul_f16_e32 v37, 0x3853, v31
	v_add_f16_e32 v33, v13, v20
	v_fma_f16 v36, v28, 0xbbad, -v32
	v_add_f16_e32 v29, v29, v13
	v_mul_f16_e32 v41, 0xba0c, v34
	v_fma_f16 v40, v30, 0x3abb, -v37
	v_sub_f16_e32 v42, v19, v11
	v_add_f16_e32 v36, v23, v36
	v_add_f16_e32 v29, v29, v12
	;; [unrolled: 1-line block ×3, first 2 shown]
	v_sub_f16_e32 v45, v18, v15
	v_mul_f16_e32 v44, 0x3b47, v42
	v_add_f16_e32 v36, v36, v40
	v_add_f16_e32 v29, v29, v0
	v_fma_f16 v40, v33, 0xb93d, -v41
	v_add_f16_e32 v46, v0, v7
	v_mul_f16_e32 v47, 0xbbeb, v45
	v_pk_mul_f16 v49, 0xbb47b853, v27 op_sel_hi:[1,0]
	v_add_f16_e32 v29, v29, v7
	v_add_f16_e32 v36, v36, v40
	v_fma_f16 v40, v43, 0x36a6, -v44
	v_pk_mul_f16 v52, 0xba0cbb47, v31 op_sel_hi:[1,0]
	v_fmamk_f16 v51, v28, 0x3abb, v49
	v_add_f16_e32 v29, v29, v17
	v_pk_mul_f16 v53, 0x3482bbeb, v34 op_sel_hi:[1,0]
	v_add_f16_e32 v36, v40, v36
	v_fma_f16 v40, v46, 0xb08e, -v47
	v_pk_mul_f16 v55, 0x3853b482, v45 op_sel_hi:[1,0]
	v_add_f16_e32 v29, v29, v20
	v_mul_f16_e32 v35, 0xbbad, v28
	v_mul_f16_e32 v38, 0x3abb, v30
	v_add_f16_e32 v36, v40, v36
	v_pk_fma_f16 v40, 0x36a63abb, v28, v49 op_sel_hi:[1,0,1] neg_lo:[0,0,1] neg_hi:[0,0,1]
	v_add_f16_e32 v29, v22, v29
	v_add_f16_e32 v49, v23, v51
	v_fmamk_f16 v51, v30, 0x36a6, v52
	v_pk_fma_f16 v52, 0xb93d36a6, v30, v52 op_sel_hi:[1,0,1] neg_lo:[0,0,1] neg_hi:[0,0,1]
	v_pk_add_f16 v40, v23, v40 op_sel_hi:[0,1]
	v_add_f16_e32 v54, v25, v29
	v_pk_mul_f16 v56, 0xb08ebbad, v30 op_sel_hi:[1,0]
	v_add_f16_e32 v29, v49, v51
	v_fmamk_f16 v49, v33, 0xb08e, v53
	v_pk_mul_f16 v51, 0x3bebba0c, v42 op_sel_hi:[1,0]
	v_pk_add_f16 v40, v40, v52
	v_pk_fma_f16 v52, 0xbbadb08e, v33, v53 op_sel_hi:[1,0,1] neg_lo:[0,0,1] neg_hi:[0,0,1]
	v_mul_u32_u24_e32 v53, 22, v3
	v_add_f16_e32 v29, v29, v49
	v_fmamk_f16 v49, v43, 0xb93d, v51
	v_pk_fma_f16 v51, 0xb08eb93d, v43, v51 op_sel_hi:[1,0,1] neg_lo:[0,0,1] neg_hi:[0,0,1]
	v_pk_add_f16 v40, v40, v52
	v_add3_u32 v52, 0, v53, v5
	v_fmamk_f16 v53, v46, 0xbbad, v55
	v_add_f16_e32 v49, v49, v29
	v_pk_mul_f16 v29, 0xba0cbbeb, v27 op_sel_hi:[1,0]
	v_pk_add_f16 v40, v51, v40
	v_pk_fma_f16 v51, 0x3abbbbad, v46, v55 op_sel_hi:[1,0,1] neg_lo:[0,0,1] neg_hi:[0,0,1]
	v_pk_mul_f16 v55, 0xb93db08e, v28 op_sel_hi:[1,0]
	v_pk_mul_f16 v58, 0x3beb3482, v31 op_sel_hi:[1,0]
	v_pk_fma_f16 v57, 0xb93db08e, v28, v29 op_sel_hi:[1,0,1] neg_lo:[0,0,1] neg_hi:[0,0,1]
	v_bfi_b32 v29, 0xffff, v32, v29
	v_pk_mul_f16 v28, 0x36a6b08e, v28 op_sel_hi:[1,0]
	v_bfi_b32 v32, 0xffff, v35, v55
	v_mul_f16_e32 v39, 0xb93d, v33
	v_pk_mul_f16 v59, 0x3abb36a6, v33 op_sel_hi:[1,0]
	v_pk_mul_f16 v60, 0xb8533b47, v34 op_sel_hi:[1,0]
	v_pk_add_f16 v57, v23, v57 op_sel_hi:[0,1]
	v_pk_fma_f16 v62, 0xb08ebbad, v30, v58 op_sel_hi:[1,0,1] neg_lo:[0,0,1] neg_hi:[0,0,1]
	v_pk_add_f16 v29, v29, v32
	v_bfi_b32 v32, 0xffff, v37, v58
	v_bfi_b32 v37, 0xffff, v38, v56
	v_pk_fma_f16 v27, 0xbb47bbeb, v27, v28 op_sel_hi:[1,0,1]
	v_pk_mul_f16 v28, 0xb93dbbad, v30 op_sel_hi:[1,0]
	v_mul_f16_e32 v48, 0x36a6, v43
	v_pk_mul_f16 v61, 0xbbad3abb, v43 op_sel_hi:[1,0]
	v_pk_mul_f16 v35, 0xb482b853, v42 op_sel_hi:[1,0]
	v_pk_add_f16 v57, v57, v62
	v_pk_fma_f16 v62, 0x3abb36a6, v33, v60 op_sel_hi:[1,0,1] neg_lo:[0,0,1] neg_hi:[0,0,1]
	v_pk_add_f16 v29, v23, v29 op_sel_hi:[0,1]
	v_pk_add_f16 v32, v32, v37
	v_bfi_b32 v37, 0xffff, v41, v60
	v_bfi_b32 v39, 0xffff, v39, v59
	v_pk_add_f16 v23, v23, v27 op_sel_hi:[0,1]
	v_pk_fma_f16 v27, 0xba0c3482, v31, v28 op_sel_hi:[1,0,1]
	v_pk_mul_f16 v28, 0xbbad36a6, v33 op_sel_hi:[1,0]
	v_mul_f16_e32 v50, 0xb08e, v46
	v_pk_mul_f16 v55, 0x36a6b93d, v46 op_sel_hi:[1,0]
	v_pk_mul_f16 v38, 0x3b47ba0c, v45 op_sel_hi:[1,0]
	v_pk_add_f16 v56, v57, v62
	v_pk_fma_f16 v57, 0xbbad3abb, v43, v35 op_sel_hi:[1,0,1] neg_lo:[0,0,1] neg_hi:[0,0,1]
	v_pk_add_f16 v29, v29, v32
	v_pk_add_f16 v30, v37, v39
	v_bfi_b32 v32, 0xffff, v44, v35
	v_bfi_b32 v35, 0xffff, v48, v61
	v_pk_add_f16 v23, v23, v27
	v_pk_fma_f16 v27, 0x34823b47, v34, v28 op_sel_hi:[1,0,1]
	v_pk_mul_f16 v28, 0xb08e3abb, v43 op_sel_hi:[1,0]
	v_pk_add_f16 v41, v57, v56
	v_pk_fma_f16 v31, 0x36a6b93d, v46, v38 op_sel_hi:[1,0,1] neg_lo:[0,0,1] neg_hi:[0,0,1]
	v_pk_add_f16 v29, v29, v30
	v_pk_add_f16 v30, v32, v35
	v_bfi_b32 v32, 0xffff, v47, v38
	v_bfi_b32 v33, 0xffff, v50, v55
	v_pk_add_f16 v23, v23, v27
	v_pk_fma_f16 v27, 0x3bebb853, v42, v28 op_sel_hi:[1,0,1]
	v_pk_mul_f16 v28, 0x3abbb93d, v46 op_sel_hi:[1,0]
	v_pk_add_f16 v29, v30, v29
	v_pk_add_f16 v30, v32, v33
	;; [unrolled: 1-line block ×5, first 2 shown]
	v_pk_fma_f16 v33, 0x3853ba0c, v45, v28 op_sel_hi:[1,0,1]
	v_pk_add_f16 v30, v30, v29
	v_alignbit_b32 v29, v36, v31, 16
	v_alignbit_b32 v28, v31, v32, 16
	v_pack_b32_f16 v27, v54, v32
	v_pk_add_f16 v23, v33, v23
	v_add_f16_e32 v31, v53, v49
	ds_store_b128 v52, v[27:30]
	ds_store_b32 v52, v23 offset:16
	ds_store_b16 v52, v31 offset:20
.LBB0_14:
	s_or_b32 exec_lo, exec_lo, s1
	v_lshlrev_b32_e32 v23, 1, v3
	s_waitcnt lgkmcnt(0)
	s_barrier
	buffer_gl0_inv
	v_add_nc_u32_e32 v36, 0, v23
	v_add3_u32 v34, 0, v5, v23
	s_delay_alu instid0(VALU_DEP_2)
	v_add_nc_u32_e32 v35, v36, v5
	ds_load_u16 v23, v34
	ds_load_u16 v31, v35 offset:22
	ds_load_u16 v27, v35 offset:44
	;; [unrolled: 1-line block ×7, first 2 shown]
	s_waitcnt lgkmcnt(0)
	s_barrier
	buffer_gl0_inv
	s_and_saveexec_b32 s1, s0
	s_cbranch_execz .LBB0_16
; %bb.15:
	v_add_f16_e32 v37, v6, v26
	v_sub_f16_e32 v14, v14, v22
	v_sub_f16_e32 v12, v12, v17
	;; [unrolled: 1-line block ×3, first 2 shown]
	v_add_f16_e32 v26, v26, v8
	v_add_f16_e32 v22, v37, v24
	;; [unrolled: 1-line block ×4, first 2 shown]
	v_mul_f16_e32 v37, 0xb482, v16
	v_sub_f16_e32 v13, v13, v20
	v_add_f16_e32 v17, v22, v21
	v_add_f16_e32 v21, v18, v15
	;; [unrolled: 1-line block ×3, first 2 shown]
	v_pk_mul_f16 v42, 0xbb47b853, v16 op_sel_hi:[1,0]
	v_fmamk_f16 v44, v26, 0xbbad, v37
	v_add_f16_e32 v17, v17, v19
	v_mul_f16_e32 v19, 0x3853, v14
	v_pk_mul_f16 v43, 0xba0cbb47, v14 op_sel_hi:[1,0]
	v_fma_f16 v47, v26, 0x3abb, -v42
	v_add_f16_e32 v44, v6, v44
	v_add_f16_e32 v17, v17, v18
	v_fmamk_f16 v45, v25, 0x3abb, v19
	v_pk_fma_f16 v42, 0x36a63abb, v26, v42 op_sel_hi:[1,0,1]
	v_mul_f16_e32 v40, 0xba0c, v13
	v_mul_f16_e32 v18, 0x3b47, v12
	v_add_f16_e32 v15, v17, v15
	v_pk_mul_f16 v17, 0x3482bbeb, v13 op_sel_hi:[1,0]
	v_add_f16_e32 v44, v44, v45
	v_add_f16_e32 v45, v6, v47
	v_pk_add_f16 v42, v6, v42 op_sel_hi:[0,1]
	v_add_f16_e32 v11, v15, v11
	v_fmamk_f16 v46, v24, 0xb93d, v40
	v_fmamk_f16 v15, v20, 0x36a6, v18
	v_sub_f16_e32 v0, v0, v7
	v_pk_mul_f16 v47, 0xb482b853, v12 op_sel_hi:[1,0]
	v_add_f16_e32 v10, v11, v10
	v_fma_f16 v11, v25, 0x36a6, -v43
	v_pk_fma_f16 v43, 0xb93d36a6, v25, v43 op_sel_hi:[1,0,1]
	v_add_f16_e32 v44, v44, v46
	v_mul_f16_e32 v22, 0xbbad, v26
	v_add_f16_e32 v9, v9, v10
	v_fma_f16 v10, v24, 0xb08e, -v17
	v_add_f16_e32 v11, v45, v11
	v_pk_add_f16 v42, v42, v43
	v_pk_fma_f16 v17, 0xbbadb08e, v24, v17 op_sel_hi:[1,0,1]
	v_add_f16_e32 v9, v8, v9
	v_pk_mul_f16 v8, 0x3bebba0c, v12 op_sel_hi:[1,0]
	v_pk_mul_f16 v43, 0xba0cbbeb, v16 op_sel_hi:[1,0]
	v_add_f16_e32 v10, v11, v10
	v_pk_add_f16 v7, v42, v17
	v_pk_mul_f16 v42, 0x3beb3482, v14 op_sel_hi:[1,0]
	v_fma_f16 v11, v20, 0xb93d, -v8
	v_pk_fma_f16 v17, 0xb93db08e, v26, v43 op_sel_hi:[1,0,1]
	v_add_f16_e32 v15, v15, v44
	v_pk_fma_f16 v8, 0xb08eb93d, v20, v8 op_sel_hi:[1,0,1]
	v_pk_fma_f16 v44, 0xb08ebbad, v25, v42 op_sel_hi:[1,0,1]
	v_add_f16_e32 v10, v11, v10
	v_pk_mul_f16 v11, 0x3853b482, v0 op_sel_hi:[1,0]
	v_pk_add_f16 v17, v6, v17 op_sel_hi:[0,1]
	v_pk_mul_f16 v45, 0xb8533b47, v13 op_sel_hi:[1,0]
	v_pk_add_f16 v7, v8, v7
	v_pk_mul_f16 v8, 0x3abbbbad, v21 op_sel_hi:[1,0]
	v_pk_fma_f16 v46, 0x3abbbbad, v21, v11 op_sel_hi:[1,0,1]
	v_pk_add_f16 v17, v17, v44
	v_pk_fma_f16 v44, 0x3abb36a6, v24, v45 op_sel_hi:[1,0,1]
	v_pk_mul_f16 v16, 0x3b473beb, v16 op_sel_hi:[1,0]
	v_sub_f16_e32 v11, v8, v11
	v_pk_add_f16 v46, v46, v7
	v_pk_mul_f16 v7, 0xb93db08e, v26 op_sel_hi:[1,0]
	v_pk_add_f16 v8, v17, v44
	v_pk_fma_f16 v17, 0xbbad3abb, v20, v47 op_sel_hi:[1,0,1]
	v_mul_f16_e32 v38, 0x3abb, v25
	v_pk_mul_f16 v44, 0xb08ebbad, v25 op_sel_hi:[1,0]
	v_pk_fma_f16 v16, 0x36a6b08e, v26, v16 op_sel_hi:[1,0,1]
	v_pk_mul_f16 v14, 0x3a0cb482, v14 op_sel_hi:[1,0]
	v_pk_add_f16 v8, v17, v8
	v_bfi_b32 v7, 0xffff, v22, v7
	v_bfi_b32 v17, 0xffff, v37, v43
	v_mul_f16_e32 v39, 0xb93d, v24
	v_pk_mul_f16 v48, 0x3abb36a6, v24 op_sel_hi:[1,0]
	v_pk_add_f16 v16, v6, v16 op_sel_hi:[0,1]
	v_pk_fma_f16 v14, 0xb93dbbad, v25, v14 op_sel_hi:[1,0,1]
	v_pk_mul_f16 v13, 0xb482bb47, v13 op_sel_hi:[1,0]
	v_pk_add_f16 v7, v7, v17 neg_lo:[0,1] neg_hi:[0,1]
	v_bfi_b32 v17, 0xffff, v38, v44
	v_bfi_b32 v19, 0xffff, v19, v42
	v_mul_f16_e32 v41, 0x36a6, v20
	v_pk_mul_f16 v49, 0xbbad3abb, v20 op_sel_hi:[1,0]
	v_pk_add_f16 v14, v16, v14
	v_pk_fma_f16 v13, 0xbbad36a6, v24, v13 op_sel_hi:[1,0,1]
	v_pk_add_f16 v6, v6, v7 op_sel_hi:[0,1]
	v_pk_add_f16 v7, v17, v19 neg_lo:[0,1] neg_hi:[0,1]
	v_bfi_b32 v16, 0xffff, v39, v48
	v_bfi_b32 v17, 0xffff, v40, v45
	v_pk_mul_f16 v22, 0x36a6b93d, v21 op_sel_hi:[1,0]
	v_pk_mul_f16 v25, 0x3b47ba0c, v0 op_sel_hi:[1,0]
	v_pk_add_f16 v13, v14, v13
	v_pk_add_f16 v6, v6, v7
	v_pk_add_f16 v7, v16, v17 neg_lo:[0,1] neg_hi:[0,1]
	v_bfi_b32 v14, 0xffff, v41, v49
	v_bfi_b32 v16, 0xffff, v18, v47
	v_mul_f16_e32 v17, 0xb08e, v21
	v_mul_f16_e32 v18, 0xbbeb, v0
	v_pk_mul_f16 v12, 0xbbeb3853, v12 op_sel_hi:[1,0]
	v_pk_fma_f16 v19, 0x36a6b93d, v21, v25 op_sel_hi:[1,0,1]
	v_pk_add_f16 v6, v6, v7
	v_pk_add_f16 v7, v14, v16 neg_lo:[0,1] neg_hi:[0,1]
	v_bfi_b32 v14, 0xffff, v17, v22
	v_bfi_b32 v16, 0xffff, v18, v25
	v_fmamk_f16 v17, v21, 0xb08e, v18
	v_pk_fma_f16 v12, 0xb08e3abb, v20, v12 op_sel_hi:[1,0,1]
	v_pk_mul_f16 v0, 0xb8533a0c, v0 op_sel_hi:[1,0]
	v_pk_add_f16 v18, v19, v8
	v_pk_add_f16 v6, v7, v6
	v_pk_add_f16 v7, v14, v16 neg_lo:[0,1] neg_hi:[0,1]
	v_mul_u32_u24_e32 v14, 20, v3
	v_add_f16_e32 v15, v17, v15
	v_pk_add_f16 v12, v12, v13
	v_pk_fma_f16 v0, 0x3abbb93d, v21, v0 op_sel_hi:[1,0,1]
	v_pk_add_f16 v8, v7, v6
	v_add3_u32 v13, v36, v14, v5
	v_alignbit_b32 v7, v15, v18, 16
	v_alignbit_b32 v6, v18, v46, 16
	v_pack_b32_f16 v5, v9, v46
	v_pk_add_f16 v0, v0, v12
	v_add_f16_e32 v9, v11, v10
	ds_store_b128 v13, v[5:8]
	ds_store_b32 v13, v0 offset:16
	ds_store_b16 v13, v9 offset:20
.LBB0_16:
	s_or_b32 exec_lo, exec_lo, s1
	s_waitcnt lgkmcnt(0)
	s_barrier
	buffer_gl0_inv
	s_and_saveexec_b32 s0, vcc_lo
	s_cbranch_execz .LBB0_18
; %bb.17:
	v_mul_u32_u24_e32 v0, 7, v3
	s_delay_alu instid0(VALU_DEP_1)
	v_dual_mov_b32 v5, 0 :: v_dual_lshlrev_b32 v0, 2, v0
	s_clause 0x1
	global_load_b128 v[6:9], v0, s[4:5]
	global_load_b96 v[10:12], v0, s[4:5] offset:16
	ds_load_u16 v13, v35 offset:88
	ds_load_u16 v14, v35 offset:154
	;; [unrolled: 1-line block ×7, first 2 shown]
	ds_load_u16 v20, v34
	v_lshlrev_b64 v[0:1], 2, v[1:2]
	v_lshlrev_b64 v[2:3], 2, v[4:5]
	s_delay_alu instid0(VALU_DEP_2) | instskip(NEXT) | instid1(VALU_DEP_3)
	v_add_co_u32 v0, vcc_lo, s8, v0
	v_add_co_ci_u32_e32 v1, vcc_lo, s9, v1, vcc_lo
	s_delay_alu instid0(VALU_DEP_2) | instskip(NEXT) | instid1(VALU_DEP_2)
	v_add_co_u32 v0, vcc_lo, v0, v2
	v_add_co_ci_u32_e32 v1, vcc_lo, v1, v3, vcc_lo
	s_waitcnt vmcnt(1)
	v_lshrrev_b32_e32 v4, 16, v6
	v_lshrrev_b32_e32 v5, 16, v7
	;; [unrolled: 1-line block ×4, first 2 shown]
	s_waitcnt vmcnt(0)
	v_lshrrev_b32_e32 v24, 16, v11
	v_lshrrev_b32_e32 v25, 16, v10
	;; [unrolled: 1-line block ×3, first 2 shown]
	s_waitcnt lgkmcnt(7)
	v_mul_f16_e32 v34, v13, v21
	v_mul_f16_e32 v35, v27, v5
	;; [unrolled: 1-line block ×3, first 2 shown]
	s_waitcnt lgkmcnt(3)
	v_mul_f16_e32 v37, v17, v4
	v_mul_f16_e32 v38, v16, v25
	;; [unrolled: 1-line block ×6, first 2 shown]
	s_waitcnt lgkmcnt(1)
	v_mul_f16_e32 v22, v19, v22
	v_mul_f16_e32 v26, v14, v26
	v_mul_f16_e32 v21, v33, v21
	v_mul_f16_e32 v5, v18, v5
	v_mul_f16_e32 v24, v15, v24
	v_fma_f16 v33, v33, v9, -v34
	v_fmac_f16_e32 v35, v18, v7
	v_fmac_f16_e32 v36, v15, v11
	v_fma_f16 v15, v31, v6, -v37
	v_fma_f16 v18, v32, v10, -v38
	v_fmac_f16_e32 v39, v19, v8
	v_fmac_f16_e32 v40, v14, v12
	;; [unrolled: 1-line block ×4, first 2 shown]
	v_fma_f16 v6, v29, v8, -v22
	v_fma_f16 v8, v30, v12, -v26
	v_fmac_f16_e32 v21, v9, v13
	v_fma_f16 v5, v27, v7, -v5
	v_fma_f16 v7, v28, v11, -v24
	v_sub_f16_e32 v9, v23, v33
	v_sub_f16_e32 v10, v35, v36
	;; [unrolled: 1-line block ×6, first 2 shown]
	s_waitcnt lgkmcnt(0)
	v_sub_f16_e32 v14, v20, v21
	v_sub_f16_e32 v7, v5, v7
	;; [unrolled: 1-line block ×4, first 2 shown]
	v_fma_f16 v18, v23, 2.0, -v9
	v_fma_f16 v4, v4, 2.0, -v13
	v_add_f16_e32 v17, v7, v14
	v_fma_f16 v5, v5, 2.0, -v7
	v_fma_f16 v7, v39, 2.0, -v12
	v_fma_f16 v12, v20, 2.0, -v14
	v_fma_f16 v10, v35, 2.0, -v10
	v_fma_f16 v15, v15, 2.0, -v11
	v_fma_f16 v6, v6, 2.0, -v8
	v_add_f16_e32 v16, v13, v8
	v_fmamk_f16 v8, v3, 0x39a8, v2
	v_sub_f16_e32 v5, v18, v5
	v_sub_f16_e32 v7, v4, v7
	;; [unrolled: 1-line block ×4, first 2 shown]
	v_fma_f16 v9, v9, 2.0, -v2
	v_fma_f16 v11, v11, 2.0, -v3
	;; [unrolled: 1-line block ×4, first 2 shown]
	v_fmamk_f16 v19, v16, 0x39a8, v17
	v_fmac_f16_e32 v8, 0xb9a8, v16
	v_add_f16_e32 v16, v10, v6
	v_fma_f16 v18, v18, 2.0, -v5
	v_fma_f16 v6, v15, 2.0, -v6
	;; [unrolled: 1-line block ×4, first 2 shown]
	v_fmamk_f16 v20, v11, 0xb9a8, v9
	v_fmamk_f16 v21, v13, 0xb9a8, v14
	v_fmac_f16_e32 v19, 0x39a8, v3
	v_sub_f16_e32 v3, v5, v7
	v_sub_f16_e32 v6, v18, v6
	;; [unrolled: 1-line block ×3, first 2 shown]
	v_fmac_f16_e32 v20, 0xb9a8, v13
	v_fmac_f16_e32 v21, 0x39a8, v11
	v_fma_f16 v5, v5, 2.0, -v3
	v_fma_f16 v10, v10, 2.0, -v16
	v_fma_f16 v11, v18, 2.0, -v6
	v_fma_f16 v12, v12, 2.0, -v4
	v_fma_f16 v9, v9, 2.0, -v20
	v_fma_f16 v13, v14, 2.0, -v21
	v_fma_f16 v2, v2, 2.0, -v8
	v_fma_f16 v7, v17, 2.0, -v19
	v_pack_b32_f16 v5, v5, v10
	v_pack_b32_f16 v10, v11, v12
	;; [unrolled: 1-line block ×8, first 2 shown]
	s_clause 0x7
	global_store_b32 v[0:1], v10, off
	global_store_b32 v[0:1], v9, off offset:44
	global_store_b32 v[0:1], v5, off offset:88
	;; [unrolled: 1-line block ×7, first 2 shown]
.LBB0_18:
	s_nop 0
	s_sendmsg sendmsg(MSG_DEALLOC_VGPRS)
	s_endpgm
	.section	.rodata,"a",@progbits
	.p2align	6, 0x0
	.amdhsa_kernel fft_rtc_fwd_len88_factors_11_8_wgs_121_tpt_11_halfLds_half_ip_CI_unitstride_sbrr_dirReg
		.amdhsa_group_segment_fixed_size 0
		.amdhsa_private_segment_fixed_size 0
		.amdhsa_kernarg_size 88
		.amdhsa_user_sgpr_count 15
		.amdhsa_user_sgpr_dispatch_ptr 0
		.amdhsa_user_sgpr_queue_ptr 0
		.amdhsa_user_sgpr_kernarg_segment_ptr 1
		.amdhsa_user_sgpr_dispatch_id 0
		.amdhsa_user_sgpr_private_segment_size 0
		.amdhsa_wavefront_size32 1
		.amdhsa_uses_dynamic_stack 0
		.amdhsa_enable_private_segment 0
		.amdhsa_system_sgpr_workgroup_id_x 1
		.amdhsa_system_sgpr_workgroup_id_y 0
		.amdhsa_system_sgpr_workgroup_id_z 0
		.amdhsa_system_sgpr_workgroup_info 0
		.amdhsa_system_vgpr_workitem_id 0
		.amdhsa_next_free_vgpr 63
		.amdhsa_next_free_sgpr 21
		.amdhsa_reserve_vcc 1
		.amdhsa_float_round_mode_32 0
		.amdhsa_float_round_mode_16_64 0
		.amdhsa_float_denorm_mode_32 3
		.amdhsa_float_denorm_mode_16_64 3
		.amdhsa_dx10_clamp 1
		.amdhsa_ieee_mode 1
		.amdhsa_fp16_overflow 0
		.amdhsa_workgroup_processor_mode 1
		.amdhsa_memory_ordered 1
		.amdhsa_forward_progress 0
		.amdhsa_shared_vgpr_count 0
		.amdhsa_exception_fp_ieee_invalid_op 0
		.amdhsa_exception_fp_denorm_src 0
		.amdhsa_exception_fp_ieee_div_zero 0
		.amdhsa_exception_fp_ieee_overflow 0
		.amdhsa_exception_fp_ieee_underflow 0
		.amdhsa_exception_fp_ieee_inexact 0
		.amdhsa_exception_int_div_zero 0
	.end_amdhsa_kernel
	.text
.Lfunc_end0:
	.size	fft_rtc_fwd_len88_factors_11_8_wgs_121_tpt_11_halfLds_half_ip_CI_unitstride_sbrr_dirReg, .Lfunc_end0-fft_rtc_fwd_len88_factors_11_8_wgs_121_tpt_11_halfLds_half_ip_CI_unitstride_sbrr_dirReg
                                        ; -- End function
	.section	.AMDGPU.csdata,"",@progbits
; Kernel info:
; codeLenInByte = 4884
; NumSgprs: 23
; NumVgprs: 63
; ScratchSize: 0
; MemoryBound: 0
; FloatMode: 240
; IeeeMode: 1
; LDSByteSize: 0 bytes/workgroup (compile time only)
; SGPRBlocks: 2
; VGPRBlocks: 7
; NumSGPRsForWavesPerEU: 23
; NumVGPRsForWavesPerEU: 63
; Occupancy: 16
; WaveLimiterHint : 1
; COMPUTE_PGM_RSRC2:SCRATCH_EN: 0
; COMPUTE_PGM_RSRC2:USER_SGPR: 15
; COMPUTE_PGM_RSRC2:TRAP_HANDLER: 0
; COMPUTE_PGM_RSRC2:TGID_X_EN: 1
; COMPUTE_PGM_RSRC2:TGID_Y_EN: 0
; COMPUTE_PGM_RSRC2:TGID_Z_EN: 0
; COMPUTE_PGM_RSRC2:TIDIG_COMP_CNT: 0
	.text
	.p2alignl 7, 3214868480
	.fill 96, 4, 3214868480
	.type	__hip_cuid_d668e57c6f4fe7c2,@object ; @__hip_cuid_d668e57c6f4fe7c2
	.section	.bss,"aw",@nobits
	.globl	__hip_cuid_d668e57c6f4fe7c2
__hip_cuid_d668e57c6f4fe7c2:
	.byte	0                               ; 0x0
	.size	__hip_cuid_d668e57c6f4fe7c2, 1

	.ident	"AMD clang version 19.0.0git (https://github.com/RadeonOpenCompute/llvm-project roc-6.4.0 25133 c7fe45cf4b819c5991fe208aaa96edf142730f1d)"
	.section	".note.GNU-stack","",@progbits
	.addrsig
	.addrsig_sym __hip_cuid_d668e57c6f4fe7c2
	.amdgpu_metadata
---
amdhsa.kernels:
  - .args:
      - .actual_access:  read_only
        .address_space:  global
        .offset:         0
        .size:           8
        .value_kind:     global_buffer
      - .offset:         8
        .size:           8
        .value_kind:     by_value
      - .actual_access:  read_only
        .address_space:  global
        .offset:         16
        .size:           8
        .value_kind:     global_buffer
      - .actual_access:  read_only
        .address_space:  global
        .offset:         24
        .size:           8
        .value_kind:     global_buffer
      - .offset:         32
        .size:           8
        .value_kind:     by_value
      - .actual_access:  read_only
        .address_space:  global
        .offset:         40
        .size:           8
        .value_kind:     global_buffer
      - .actual_access:  read_only
        .address_space:  global
        .offset:         48
        .size:           8
        .value_kind:     global_buffer
      - .offset:         56
        .size:           4
        .value_kind:     by_value
      - .actual_access:  read_only
        .address_space:  global
        .offset:         64
        .size:           8
        .value_kind:     global_buffer
      - .actual_access:  read_only
        .address_space:  global
        .offset:         72
        .size:           8
        .value_kind:     global_buffer
      - .address_space:  global
        .offset:         80
        .size:           8
        .value_kind:     global_buffer
    .group_segment_fixed_size: 0
    .kernarg_segment_align: 8
    .kernarg_segment_size: 88
    .language:       OpenCL C
    .language_version:
      - 2
      - 0
    .max_flat_workgroup_size: 121
    .name:           fft_rtc_fwd_len88_factors_11_8_wgs_121_tpt_11_halfLds_half_ip_CI_unitstride_sbrr_dirReg
    .private_segment_fixed_size: 0
    .sgpr_count:     23
    .sgpr_spill_count: 0
    .symbol:         fft_rtc_fwd_len88_factors_11_8_wgs_121_tpt_11_halfLds_half_ip_CI_unitstride_sbrr_dirReg.kd
    .uniform_work_group_size: 1
    .uses_dynamic_stack: false
    .vgpr_count:     63
    .vgpr_spill_count: 0
    .wavefront_size: 32
    .workgroup_processor_mode: 1
amdhsa.target:   amdgcn-amd-amdhsa--gfx1100
amdhsa.version:
  - 1
  - 2
...

	.end_amdgpu_metadata
